;; amdgpu-corpus repo=ROCm/rocFFT kind=compiled arch=gfx1030 opt=O3
	.text
	.amdgcn_target "amdgcn-amd-amdhsa--gfx1030"
	.amdhsa_code_object_version 6
	.protected	fft_rtc_fwd_len1080_factors_6_10_6_3_wgs_216_tpt_108_halfLds_dp_op_CI_CI_unitstride_sbrr_dirReg ; -- Begin function fft_rtc_fwd_len1080_factors_6_10_6_3_wgs_216_tpt_108_halfLds_dp_op_CI_CI_unitstride_sbrr_dirReg
	.globl	fft_rtc_fwd_len1080_factors_6_10_6_3_wgs_216_tpt_108_halfLds_dp_op_CI_CI_unitstride_sbrr_dirReg
	.p2align	8
	.type	fft_rtc_fwd_len1080_factors_6_10_6_3_wgs_216_tpt_108_halfLds_dp_op_CI_CI_unitstride_sbrr_dirReg,@function
fft_rtc_fwd_len1080_factors_6_10_6_3_wgs_216_tpt_108_halfLds_dp_op_CI_CI_unitstride_sbrr_dirReg: ; @fft_rtc_fwd_len1080_factors_6_10_6_3_wgs_216_tpt_108_halfLds_dp_op_CI_CI_unitstride_sbrr_dirReg
; %bb.0:
	s_clause 0x2
	s_load_dwordx4 s[8:11], s[4:5], 0x0
	s_load_dwordx4 s[12:15], s[4:5], 0x58
	;; [unrolled: 1-line block ×3, first 2 shown]
	v_mul_u32_u24_e32 v1, 0x25f, v0
	v_mov_b32_e32 v3, 0
	v_lshrrev_b32_e32 v72, 16, v1
	v_mov_b32_e32 v1, 0
	v_mov_b32_e32 v6, v3
	v_mov_b32_e32 v2, 0
	v_lshl_add_u32 v5, s6, 1, v72
	s_waitcnt lgkmcnt(0)
	v_cmp_lt_u64_e64 s0, s[10:11], 2
	s_and_b32 vcc_lo, exec_lo, s0
	s_cbranch_vccnz .LBB0_8
; %bb.1:
	s_load_dwordx2 s[0:1], s[4:5], 0x10
	v_mov_b32_e32 v1, 0
	v_mov_b32_e32 v2, 0
	s_add_u32 s2, s18, 8
	s_addc_u32 s3, s19, 0
	s_add_u32 s6, s16, 8
	s_addc_u32 s7, s17, 0
	v_mov_b32_e32 v57, v2
	v_mov_b32_e32 v56, v1
	s_mov_b64 s[22:23], 1
	s_waitcnt lgkmcnt(0)
	s_add_u32 s20, s0, 8
	s_addc_u32 s21, s1, 0
.LBB0_2:                                ; =>This Inner Loop Header: Depth=1
	s_load_dwordx2 s[24:25], s[20:21], 0x0
                                        ; implicit-def: $vgpr58_vgpr59
	s_mov_b32 s0, exec_lo
	s_waitcnt lgkmcnt(0)
	v_or_b32_e32 v4, s25, v6
	v_cmpx_ne_u64_e32 0, v[3:4]
	s_xor_b32 s1, exec_lo, s0
	s_cbranch_execz .LBB0_4
; %bb.3:                                ;   in Loop: Header=BB0_2 Depth=1
	v_cvt_f32_u32_e32 v4, s24
	v_cvt_f32_u32_e32 v7, s25
	s_sub_u32 s0, 0, s24
	s_subb_u32 s26, 0, s25
	v_fmac_f32_e32 v4, 0x4f800000, v7
	v_rcp_f32_e32 v4, v4
	v_mul_f32_e32 v4, 0x5f7ffffc, v4
	v_mul_f32_e32 v7, 0x2f800000, v4
	v_trunc_f32_e32 v7, v7
	v_fmac_f32_e32 v4, 0xcf800000, v7
	v_cvt_u32_f32_e32 v7, v7
	v_cvt_u32_f32_e32 v4, v4
	v_mul_lo_u32 v8, s0, v7
	v_mul_hi_u32 v9, s0, v4
	v_mul_lo_u32 v10, s26, v4
	v_add_nc_u32_e32 v8, v9, v8
	v_mul_lo_u32 v9, s0, v4
	v_add_nc_u32_e32 v8, v8, v10
	v_mul_hi_u32 v10, v4, v9
	v_mul_lo_u32 v11, v4, v8
	v_mul_hi_u32 v12, v4, v8
	v_mul_hi_u32 v13, v7, v9
	v_mul_lo_u32 v9, v7, v9
	v_mul_hi_u32 v14, v7, v8
	v_mul_lo_u32 v8, v7, v8
	v_add_co_u32 v10, vcc_lo, v10, v11
	v_add_co_ci_u32_e32 v11, vcc_lo, 0, v12, vcc_lo
	v_add_co_u32 v9, vcc_lo, v10, v9
	v_add_co_ci_u32_e32 v9, vcc_lo, v11, v13, vcc_lo
	v_add_co_ci_u32_e32 v10, vcc_lo, 0, v14, vcc_lo
	v_add_co_u32 v8, vcc_lo, v9, v8
	v_add_co_ci_u32_e32 v9, vcc_lo, 0, v10, vcc_lo
	v_add_co_u32 v4, vcc_lo, v4, v8
	v_add_co_ci_u32_e32 v7, vcc_lo, v7, v9, vcc_lo
	v_mul_hi_u32 v8, s0, v4
	v_mul_lo_u32 v10, s26, v4
	v_mul_lo_u32 v9, s0, v7
	v_add_nc_u32_e32 v8, v8, v9
	v_mul_lo_u32 v9, s0, v4
	v_add_nc_u32_e32 v8, v8, v10
	v_mul_hi_u32 v10, v4, v9
	v_mul_lo_u32 v11, v4, v8
	v_mul_hi_u32 v12, v4, v8
	v_mul_hi_u32 v13, v7, v9
	v_mul_lo_u32 v9, v7, v9
	v_mul_hi_u32 v14, v7, v8
	v_mul_lo_u32 v8, v7, v8
	v_add_co_u32 v10, vcc_lo, v10, v11
	v_add_co_ci_u32_e32 v11, vcc_lo, 0, v12, vcc_lo
	v_add_co_u32 v9, vcc_lo, v10, v9
	v_add_co_ci_u32_e32 v9, vcc_lo, v11, v13, vcc_lo
	v_add_co_ci_u32_e32 v10, vcc_lo, 0, v14, vcc_lo
	v_add_co_u32 v8, vcc_lo, v9, v8
	v_add_co_ci_u32_e32 v9, vcc_lo, 0, v10, vcc_lo
	v_add_co_u32 v4, vcc_lo, v4, v8
	v_add_co_ci_u32_e32 v11, vcc_lo, v7, v9, vcc_lo
	v_mul_hi_u32 v13, v5, v4
	v_mad_u64_u32 v[9:10], null, v6, v4, 0
	v_mad_u64_u32 v[7:8], null, v5, v11, 0
	v_mad_u64_u32 v[11:12], null, v6, v11, 0
	v_add_co_u32 v4, vcc_lo, v13, v7
	v_add_co_ci_u32_e32 v7, vcc_lo, 0, v8, vcc_lo
	v_add_co_u32 v4, vcc_lo, v4, v9
	v_add_co_ci_u32_e32 v4, vcc_lo, v7, v10, vcc_lo
	v_add_co_ci_u32_e32 v7, vcc_lo, 0, v12, vcc_lo
	v_add_co_u32 v4, vcc_lo, v4, v11
	v_add_co_ci_u32_e32 v9, vcc_lo, 0, v7, vcc_lo
	v_mul_lo_u32 v10, s25, v4
	v_mad_u64_u32 v[7:8], null, s24, v4, 0
	v_mul_lo_u32 v11, s24, v9
	v_sub_co_u32 v7, vcc_lo, v5, v7
	v_add3_u32 v8, v8, v11, v10
	v_sub_nc_u32_e32 v10, v6, v8
	v_subrev_co_ci_u32_e64 v10, s0, s25, v10, vcc_lo
	v_add_co_u32 v11, s0, v4, 2
	v_add_co_ci_u32_e64 v12, s0, 0, v9, s0
	v_sub_co_u32 v13, s0, v7, s24
	v_sub_co_ci_u32_e32 v8, vcc_lo, v6, v8, vcc_lo
	v_subrev_co_ci_u32_e64 v10, s0, 0, v10, s0
	v_cmp_le_u32_e32 vcc_lo, s24, v13
	v_cmp_eq_u32_e64 s0, s25, v8
	v_cndmask_b32_e64 v13, 0, -1, vcc_lo
	v_cmp_le_u32_e32 vcc_lo, s25, v10
	v_cndmask_b32_e64 v14, 0, -1, vcc_lo
	v_cmp_le_u32_e32 vcc_lo, s24, v7
	;; [unrolled: 2-line block ×3, first 2 shown]
	v_cndmask_b32_e64 v15, 0, -1, vcc_lo
	v_cmp_eq_u32_e32 vcc_lo, s25, v10
	v_cndmask_b32_e64 v7, v15, v7, s0
	v_cndmask_b32_e32 v10, v14, v13, vcc_lo
	v_add_co_u32 v13, vcc_lo, v4, 1
	v_add_co_ci_u32_e32 v14, vcc_lo, 0, v9, vcc_lo
	v_cmp_ne_u32_e32 vcc_lo, 0, v10
	v_cndmask_b32_e32 v8, v14, v12, vcc_lo
	v_cndmask_b32_e32 v10, v13, v11, vcc_lo
	v_cmp_ne_u32_e32 vcc_lo, 0, v7
	v_cndmask_b32_e32 v59, v9, v8, vcc_lo
	v_cndmask_b32_e32 v58, v4, v10, vcc_lo
.LBB0_4:                                ;   in Loop: Header=BB0_2 Depth=1
	s_andn2_saveexec_b32 s0, s1
	s_cbranch_execz .LBB0_6
; %bb.5:                                ;   in Loop: Header=BB0_2 Depth=1
	v_cvt_f32_u32_e32 v4, s24
	s_sub_i32 s1, 0, s24
	v_mov_b32_e32 v59, v3
	v_rcp_iflag_f32_e32 v4, v4
	v_mul_f32_e32 v4, 0x4f7ffffe, v4
	v_cvt_u32_f32_e32 v4, v4
	v_mul_lo_u32 v7, s1, v4
	v_mul_hi_u32 v7, v4, v7
	v_add_nc_u32_e32 v4, v4, v7
	v_mul_hi_u32 v4, v5, v4
	v_mul_lo_u32 v7, v4, s24
	v_add_nc_u32_e32 v8, 1, v4
	v_sub_nc_u32_e32 v7, v5, v7
	v_subrev_nc_u32_e32 v9, s24, v7
	v_cmp_le_u32_e32 vcc_lo, s24, v7
	v_cndmask_b32_e32 v7, v7, v9, vcc_lo
	v_cndmask_b32_e32 v4, v4, v8, vcc_lo
	v_cmp_le_u32_e32 vcc_lo, s24, v7
	v_add_nc_u32_e32 v8, 1, v4
	v_cndmask_b32_e32 v58, v4, v8, vcc_lo
.LBB0_6:                                ;   in Loop: Header=BB0_2 Depth=1
	s_or_b32 exec_lo, exec_lo, s0
	v_mul_lo_u32 v4, v59, s24
	v_mul_lo_u32 v9, v58, s25
	s_load_dwordx2 s[0:1], s[6:7], 0x0
	v_mad_u64_u32 v[7:8], null, v58, s24, 0
	s_load_dwordx2 s[24:25], s[2:3], 0x0
	s_add_u32 s22, s22, 1
	s_addc_u32 s23, s23, 0
	s_add_u32 s2, s2, 8
	s_addc_u32 s3, s3, 0
	s_add_u32 s6, s6, 8
	v_add3_u32 v4, v8, v9, v4
	v_sub_co_u32 v5, vcc_lo, v5, v7
	s_addc_u32 s7, s7, 0
	s_add_u32 s20, s20, 8
	v_sub_co_ci_u32_e32 v4, vcc_lo, v6, v4, vcc_lo
	s_addc_u32 s21, s21, 0
	s_waitcnt lgkmcnt(0)
	v_mul_lo_u32 v6, s0, v4
	v_mul_lo_u32 v7, s1, v5
	v_mad_u64_u32 v[1:2], null, s0, v5, v[1:2]
	v_mul_lo_u32 v4, s24, v4
	v_mul_lo_u32 v8, s25, v5
	v_mad_u64_u32 v[56:57], null, s24, v5, v[56:57]
	v_cmp_ge_u64_e64 s0, s[22:23], s[10:11]
	v_add3_u32 v2, v7, v2, v6
	v_add3_u32 v57, v8, v57, v4
	s_and_b32 vcc_lo, exec_lo, s0
	s_cbranch_vccnz .LBB0_9
; %bb.7:                                ;   in Loop: Header=BB0_2 Depth=1
	v_mov_b32_e32 v5, v58
	v_mov_b32_e32 v6, v59
	s_branch .LBB0_2
.LBB0_8:
	v_mov_b32_e32 v57, v2
	v_mov_b32_e32 v59, v6
	;; [unrolled: 1-line block ×4, first 2 shown]
.LBB0_9:
	s_load_dwordx2 s[0:1], s[4:5], 0x28
	v_mul_hi_u32 v3, 0x25ed098, v0
	s_lshl_b64 s[4:5], s[10:11], 3
                                        ; implicit-def: $vgpr76
	s_add_u32 s2, s18, s4
	s_addc_u32 s3, s19, s5
	s_waitcnt lgkmcnt(0)
	v_cmp_gt_u64_e32 vcc_lo, s[0:1], v[58:59]
	v_cmp_le_u64_e64 s0, s[0:1], v[58:59]
	s_and_saveexec_b32 s1, s0
	s_xor_b32 s0, exec_lo, s1
; %bb.10:
	v_mul_u32_u24_e32 v1, 0x6c, v3
                                        ; implicit-def: $vgpr3
	v_sub_nc_u32_e32 v76, v0, v1
                                        ; implicit-def: $vgpr0
                                        ; implicit-def: $vgpr1_vgpr2
; %bb.11:
	s_or_saveexec_b32 s1, s0
	s_load_dwordx2 s[2:3], s[2:3], 0x0
                                        ; implicit-def: $vgpr42_vgpr43
                                        ; implicit-def: $vgpr34_vgpr35
                                        ; implicit-def: $vgpr38_vgpr39
                                        ; implicit-def: $vgpr30_vgpr31
                                        ; implicit-def: $vgpr24_vgpr25
                                        ; implicit-def: $vgpr20_vgpr21
                                        ; implicit-def: $vgpr10_vgpr11
                                        ; implicit-def: $vgpr6_vgpr7
                                        ; implicit-def: $vgpr50_vgpr51
                                        ; implicit-def: $vgpr54_vgpr55
                                        ; implicit-def: $vgpr46_vgpr47
                                        ; implicit-def: $vgpr14_vgpr15
	s_xor_b32 exec_lo, exec_lo, s1
	s_cbranch_execz .LBB0_15
; %bb.12:
	s_add_u32 s4, s16, s4
	s_addc_u32 s5, s17, s5
	v_lshlrev_b64 v[1:2], 4, v[1:2]
	s_load_dwordx2 s[4:5], s[4:5], 0x0
                                        ; implicit-def: $vgpr18_vgpr19
                                        ; implicit-def: $vgpr22_vgpr23
                                        ; implicit-def: $vgpr28_vgpr29
                                        ; implicit-def: $vgpr36_vgpr37
                                        ; implicit-def: $vgpr32_vgpr33
                                        ; implicit-def: $vgpr40_vgpr41
	s_waitcnt lgkmcnt(0)
	v_mul_lo_u32 v6, s5, v58
	v_mul_lo_u32 v7, s4, v59
	v_mad_u64_u32 v[4:5], null, s4, v58, 0
	s_mov_b32 s4, exec_lo
	v_add3_u32 v5, v5, v7, v6
	v_mul_u32_u24_e32 v6, 0x6c, v3
	v_lshlrev_b64 v[3:4], 4, v[4:5]
	v_sub_nc_u32_e32 v76, v0, v6
	v_add_co_u32 v0, s0, s12, v3
	v_add_co_ci_u32_e64 v3, s0, s13, v4, s0
	v_lshlrev_b32_e32 v4, 4, v76
	v_add_co_u32 v0, s0, v0, v1
	v_add_co_ci_u32_e64 v1, s0, v3, v2, s0
	v_add_co_u32 v0, s0, v0, v4
	v_add_co_ci_u32_e64 v1, s0, 0, v1, s0
	;; [unrolled: 2-line block ×7, first 2 shown]
	s_clause 0x5
	global_load_dwordx4 v[12:15], v[0:1], off
	global_load_dwordx4 v[44:47], v[4:5], off offset:832
	global_load_dwordx4 v[52:55], v[2:3], off offset:1664
	;; [unrolled: 1-line block ×5, first 2 shown]
	v_cmpx_gt_u32_e32 0x48, v76
; %bb.13:
	v_add_co_u32 v28, s0, 0x1800, v0
	v_add_co_ci_u32_e64 v29, s0, 0, v1, s0
	v_add_co_u32 v32, s0, 0x3000, v0
	v_add_co_ci_u32_e64 v33, s0, 0, v1, s0
	s_clause 0x5
	global_load_dwordx4 v[18:21], v[0:1], off offset:1728
	global_load_dwordx4 v[22:25], v[2:3], off offset:512
	;; [unrolled: 1-line block ×6, first 2 shown]
; %bb.14:
	s_or_b32 exec_lo, exec_lo, s4
.LBB0_15:
	s_or_b32 exec_lo, exec_lo, s1
	s_waitcnt vmcnt(0)
	v_add_f64 v[0:1], v[8:9], v[48:49]
	v_add_f64 v[2:3], v[40:41], v[36:37]
	;; [unrolled: 1-line block ×3, first 2 shown]
	v_add_f64 v[26:27], v[50:51], -v[10:11]
	v_add_f64 v[60:61], v[42:43], v[38:39]
	v_add_f64 v[64:65], v[38:39], -v[42:43]
	s_mov_b32 s4, 0xe8584caa
	s_mov_b32 s5, 0x3febb67a
	;; [unrolled: 1-line block ×4, first 2 shown]
	v_add_f64 v[66:67], v[4:5], v[52:53]
	v_add_f64 v[68:69], v[48:49], -v[8:9]
	v_add_f64 v[70:71], v[32:33], v[28:29]
	v_add_f64 v[73:74], v[36:37], -v[40:41]
	v_add_f64 v[79:80], v[52:53], v[12:13]
	v_add_f64 v[81:82], v[48:49], v[44:45]
	v_add_f64 v[83:84], v[30:31], -v[34:35]
	v_and_b32_e32 v72, 1, v72
	v_cmp_eq_u32_e64 s0, 1, v72
	v_fma_f64 v[0:1], v[0:1], -0.5, v[44:45]
	v_fma_f64 v[2:3], v[2:3], -0.5, v[22:23]
	;; [unrolled: 1-line block ×5, first 2 shown]
	v_add_f64 v[79:80], v[4:5], v[79:80]
	v_add_f64 v[81:82], v[8:9], v[81:82]
	v_fma_f64 v[62:63], v[26:27], s[4:5], v[0:1]
	v_fma_f64 v[26:27], v[26:27], s[6:7], v[0:1]
	v_fma_f64 v[0:1], v[60:61], -0.5, v[24:25]
	v_fma_f64 v[60:61], v[64:65], s[4:5], v[2:3]
	v_fma_f64 v[16:17], v[64:65], s[6:7], v[2:3]
	v_add_f64 v[2:3], v[54:55], -v[6:7]
	v_fma_f64 v[12:13], v[68:69], s[6:7], v[77:78]
	v_fma_f64 v[64:65], v[68:69], s[4:5], v[77:78]
	;; [unrolled: 1-line block ×3, first 2 shown]
	v_mul_f64 v[68:69], v[62:63], 0.5
	v_mul_f64 v[77:78], v[26:27], -0.5
	v_fma_f64 v[44:45], v[73:74], s[6:7], v[0:1]
	v_fma_f64 v[48:49], v[73:74], s[4:5], v[0:1]
	v_mul_f64 v[0:1], v[60:61], 0.5
	v_mul_f64 v[73:74], v[16:17], -0.5
	v_fma_f64 v[85:86], v[2:3], s[4:5], v[66:67]
	v_fma_f64 v[2:3], v[2:3], s[6:7], v[66:67]
	;; [unrolled: 1-line block ×5, first 2 shown]
	v_add_f64 v[77:78], v[81:82], v[79:80]
	v_fma_f64 v[66:67], v[44:45], s[4:5], v[0:1]
	v_fma_f64 v[70:71], v[48:49], s[4:5], v[73:74]
	v_add_f64 v[83:84], v[79:80], -v[81:82]
	v_mul_u32_u24_e32 v73, 6, v76
	v_cndmask_b32_e64 v74, 0, 0x438, s0
	v_cmp_gt_u32_e64 s0, 0x48, v76
	v_lshl_add_u32 v73, v73, 3, 0
	v_lshl_add_u32 v72, v74, 3, v73
	v_add_f64 v[79:80], v[85:86], v[87:88]
	v_add_f64 v[81:82], v[2:3], v[89:90]
	v_add_f64 v[85:86], v[85:86], -v[87:88]
	v_add_f64 v[87:88], v[2:3], -v[89:90]
	v_add_f64 v[0:1], v[8:9], -v[66:67]
	v_add_f64 v[2:3], v[68:69], -v[70:71]
	ds_write_b128 v72, v[77:80]
	ds_write_b128 v72, v[81:84] offset:16
	ds_write_b128 v72, v[85:88] offset:32
	s_and_saveexec_b32 s1, s0
	s_cbranch_execz .LBB0_17
; %bb.16:
	v_add_f64 v[18:19], v[28:29], v[18:19]
	v_add_f64 v[22:23], v[36:37], v[22:23]
	;; [unrolled: 1-line block ×7, first 2 shown]
	v_add_f64 v[70:71], v[18:19], -v[22:23]
	ds_write_b128 v72, v[77:80] offset:5184
	ds_write_b128 v72, v[68:71] offset:5200
	;; [unrolled: 1-line block ×3, first 2 shown]
.LBB0_17:
	s_or_b32 exec_lo, exec_lo, s1
	v_add_f64 v[8:9], v[6:7], v[54:55]
	v_add_f64 v[18:19], v[34:35], v[30:31]
	;; [unrolled: 1-line block ×3, first 2 shown]
	v_add_f64 v[4:5], v[52:53], -v[4:5]
	v_add_f64 v[36:37], v[50:51], v[46:47]
	v_mul_f64 v[40:41], v[62:63], s[6:7]
	v_mul_f64 v[46:47], v[64:65], -0.5
	v_lshlrev_b32_e32 v80, 3, v74
	s_waitcnt lgkmcnt(0)
	s_barrier
	buffer_gl0_inv
	v_add_nc_u32_e32 v77, 0x6c, v76
	v_fma_f64 v[8:9], v[8:9], -0.5, v[14:15]
	v_add_f64 v[14:15], v[28:29], -v[32:33]
	v_mul_f64 v[28:29], v[60:61], s[6:7]
	v_mul_f64 v[32:33], v[48:49], -0.5
	v_fma_f64 v[18:19], v[18:19], -0.5, v[20:21]
	v_add_f64 v[6:7], v[6:7], v[22:23]
	v_add_f64 v[52:53], v[10:11], v[36:37]
	v_fma_f64 v[54:55], v[12:13], 0.5, v[40:41]
	v_fma_f64 v[26:27], v[26:27], s[6:7], v[46:47]
	v_mul_i32_i24_e32 v48, 0xffffffd8, v76
	v_add3_u32 v78, v73, v48, v80
	v_add_nc_u32_e32 v81, 0x1000, v78
	v_add_nc_u32_e32 v49, 0x800, v78
	;; [unrolled: 1-line block ×3, first 2 shown]
	v_fma_f64 v[64:65], v[4:5], s[6:7], v[8:9]
	v_fma_f64 v[4:5], v[4:5], s[4:5], v[8:9]
	v_fma_f64 v[44:45], v[44:45], 0.5, v[28:29]
	v_fma_f64 v[36:37], v[16:17], s[6:7], v[32:33]
	v_fma_f64 v[46:47], v[14:15], s[6:7], v[18:19]
	;; [unrolled: 1-line block ×3, first 2 shown]
	v_lshlrev_b32_e32 v8, 3, v76
	v_add_f64 v[50:51], v[52:53], v[6:7]
	v_add_f64 v[62:63], v[6:7], -v[52:53]
	ds_read2_b64 v[12:15], v78 offset0:108 offset1:216
	v_add3_u32 v79, 0, v80, v8
	ds_read_b64 v[22:23], v79
	ds_read_b64 v[32:33], v78 offset:7776
	ds_read2_b64 v[8:11], v49 offset0:68 offset1:176
	v_add_f64 v[52:53], v[64:65], v[54:55]
	v_add_f64 v[60:61], v[4:5], v[26:27]
	v_add_f64 v[66:67], v[4:5], -v[26:27]
	v_add_f64 v[64:65], v[64:65], -v[54:55]
	;; [unrolled: 1-line block ×4, first 2 shown]
	ds_read2_b64 v[16:19], v81 offset0:28 offset1:136
	ds_read2_b64 v[26:29], v48 offset0:116 offset1:224
	s_waitcnt lgkmcnt(0)
	s_barrier
	buffer_gl0_inv
	ds_write_b128 v72, v[50:53]
	ds_write_b128 v72, v[60:63] offset:16
	ds_write_b128 v72, v[64:67] offset:32
	s_and_saveexec_b32 s1, s0
	s_cbranch_execz .LBB0_19
; %bb.18:
	v_add_f64 v[20:21], v[30:31], v[20:21]
	v_add_f64 v[24:25], v[38:39], v[24:25]
	v_add_f64 v[38:39], v[46:47], v[44:45]
	v_add_f64 v[40:41], v[40:41], v[36:37]
	v_add_f64 v[20:21], v[34:35], v[20:21]
	v_add_f64 v[24:25], v[42:43], v[24:25]
	v_add_f64 v[36:37], v[24:25], v[20:21]
	v_add_f64 v[42:43], v[20:21], -v[24:25]
	v_mul_u32_u24_e32 v20, 6, v77
	v_lshlrev_b32_e32 v20, 3, v20
	v_add3_u32 v20, 0, v20, v80
	ds_write_b128 v20, v[36:39]
	ds_write_b128 v20, v[40:43] offset:16
	ds_write_b128 v20, v[4:7] offset:32
.LBB0_19:
	s_or_b32 exec_lo, exec_lo, s1
	v_and_b32_e32 v20, 0xff, v76
	v_mov_b32_e32 v24, 9
	s_waitcnt lgkmcnt(0)
	s_barrier
	buffer_gl0_inv
	v_mul_lo_u16 v20, 0xab, v20
	s_mov_b32 s12, 0x134454ff
	s_mov_b32 s13, 0x3fee6f0e
	;; [unrolled: 1-line block ×4, first 2 shown]
	v_lshrrev_b16 v20, 10, v20
	s_mov_b32 s10, 0x4755a5e
	s_mov_b32 s11, 0x3fe2cf23
	;; [unrolled: 1-line block ×4, first 2 shown]
	v_mul_lo_u16 v21, v20, 6
	s_mov_b32 s16, 0x372fe950
	s_mov_b32 s17, 0x3fd3c6ef
	;; [unrolled: 1-line block ×4, first 2 shown]
	v_sub_nc_u16 v21, v76, v21
	v_and_b32_e32 v20, 0xffff, v20
	v_mul_u32_u24_sdwa v24, v21, v24 dst_sel:DWORD dst_unused:UNUSED_PAD src0_sel:BYTE_0 src1_sel:DWORD
	v_mad_u32_u24 v20, 0x1e0, v20, 0
	v_lshlrev_b32_e32 v24, 4, v24
	s_clause 0x8
	global_load_dwordx4 v[36:39], v24, s[8:9] offset:128
	global_load_dwordx4 v[40:43], v24, s[8:9] offset:32
	;; [unrolled: 1-line block ×4, first 2 shown]
	global_load_dwordx4 v[60:63], v24, s[8:9]
	global_load_dwordx4 v[64:67], v24, s[8:9] offset:16
	global_load_dwordx4 v[68:71], v24, s[8:9] offset:112
	;; [unrolled: 1-line block ×4, first 2 shown]
	ds_read_b64 v[24:25], v78 offset:7776
	ds_read2_b64 v[86:89], v49 offset0:68 offset1:176
	ds_read_b64 v[34:35], v79
	ds_read2_b64 v[90:93], v81 offset0:28 offset1:136
	ds_read2_b64 v[94:97], v48 offset0:116 offset1:224
	;; [unrolled: 1-line block ×3, first 2 shown]
	s_waitcnt vmcnt(0) lgkmcnt(0)
	s_barrier
	buffer_gl0_inv
	v_mul_f64 v[30:31], v[24:25], v[38:39]
	v_mul_f64 v[38:39], v[32:33], v[38:39]
	;; [unrolled: 1-line block ×4, first 2 shown]
	v_fma_f64 v[102:103], v[32:33], v[36:37], -v[30:31]
	v_mul_f64 v[32:33], v[90:91], v[46:47]
	v_fma_f64 v[30:31], v[24:25], v[36:37], v[38:39]
	v_mul_f64 v[24:25], v[16:17], v[46:47]
	v_mul_f64 v[38:39], v[26:27], v[52:53]
	v_mul_f64 v[46:47], v[94:95], v[52:53]
	v_fma_f64 v[36:37], v[86:87], v[40:41], v[42:43]
	v_mul_f64 v[42:43], v[100:101], v[66:67]
	v_fma_f64 v[8:9], v[8:9], v[40:41], -v[48:49]
	v_mul_f64 v[40:41], v[98:99], v[62:63]
	v_mul_f64 v[48:49], v[92:93], v[84:85]
	v_fma_f64 v[86:87], v[16:17], v[44:45], -v[32:33]
	v_fma_f64 v[32:33], v[90:91], v[44:45], v[24:25]
	v_mul_f64 v[24:25], v[12:13], v[62:63]
	v_fma_f64 v[16:17], v[94:95], v[50:51], v[38:39]
	v_mul_f64 v[44:45], v[96:97], v[70:71]
	v_fma_f64 v[26:27], v[26:27], v[50:51], -v[46:47]
	v_mul_f64 v[46:47], v[88:89], v[74:75]
	v_fma_f64 v[50:51], v[14:15], v[64:65], -v[42:43]
	;; [unrolled: 2-line block ×3, first 2 shown]
	v_add_f64 v[42:43], v[36:37], v[30:31]
	v_add_f64 v[54:55], v[8:9], v[102:103]
	v_fma_f64 v[48:49], v[18:19], v[82:83], -v[48:49]
	v_add_f64 v[90:91], v[8:9], -v[86:87]
	v_fma_f64 v[38:39], v[98:99], v[60:61], v[24:25]
	v_add_f64 v[24:25], v[32:33], v[16:17]
	v_fma_f64 v[52:53], v[28:29], v[68:69], -v[44:45]
	v_add_f64 v[44:45], v[86:87], v[26:27]
	v_mul_f64 v[28:29], v[28:29], v[70:71]
	v_fma_f64 v[46:47], v[10:11], v[72:73], -v[46:47]
	v_mul_f64 v[10:11], v[10:11], v[74:75]
	v_mul_f64 v[60:61], v[18:19], v[84:85]
	v_fma_f64 v[40:41], v[100:101], v[64:65], v[14:15]
	v_add_f64 v[64:65], v[8:9], -v[102:103]
	v_add_f64 v[14:15], v[86:87], -v[26:27]
	;; [unrolled: 1-line block ×3, first 2 shown]
	v_fma_f64 v[66:67], v[54:55], -0.5, v[12:13]
	v_add_f64 v[70:71], v[36:37], -v[30:31]
	v_add_f64 v[84:85], v[32:33], -v[36:37]
	;; [unrolled: 1-line block ×3, first 2 shown]
	v_fma_f64 v[42:43], v[42:43], -0.5, v[38:39]
	v_fma_f64 v[24:25], v[24:25], -0.5, v[38:39]
	v_add_f64 v[74:75], v[50:51], v[52:53]
	v_fma_f64 v[44:45], v[44:45], -0.5, v[12:13]
	v_fma_f64 v[18:19], v[96:97], v[68:69], v[28:29]
	v_add_f64 v[68:69], v[46:47], v[48:49]
	v_fma_f64 v[54:55], v[88:89], v[72:73], v[10:11]
	v_add_f64 v[10:11], v[86:87], -v[8:9]
	v_add_f64 v[72:73], v[26:27], -v[102:103]
	v_fma_f64 v[28:29], v[92:93], v[82:83], v[60:61]
	v_add_f64 v[60:61], v[36:37], -v[32:33]
	v_add_f64 v[82:83], v[30:31], -v[16:17]
	;; [unrolled: 1-line block ×3, first 2 shown]
	v_fma_f64 v[96:97], v[62:63], s[12:13], v[66:67]
	v_add_f64 v[8:9], v[12:13], v[8:9]
	v_fma_f64 v[66:67], v[62:63], s[4:5], v[66:67]
	v_add_f64 v[90:91], v[90:91], v[98:99]
	v_add_f64 v[98:99], v[52:53], -v[48:49]
	v_fma_f64 v[94:95], v[14:15], s[12:13], v[42:43]
	v_fma_f64 v[92:93], v[64:65], s[4:5], v[24:25]
	v_fma_f64 v[74:75], v[74:75], -0.5, v[22:23]
	v_fma_f64 v[100:101], v[70:71], s[4:5], v[44:45]
	v_add_f64 v[12:13], v[40:41], -v[18:19]
	v_fma_f64 v[68:69], v[68:69], -0.5, v[22:23]
	v_add_f64 v[22:23], v[22:23], v[50:51]
	v_fma_f64 v[44:45], v[70:71], s[12:13], v[44:45]
	v_add_f64 v[10:11], v[10:11], v[72:73]
	v_add_f64 v[72:73], v[54:55], -v[28:29]
	v_fma_f64 v[42:43], v[14:15], s[4:5], v[42:43]
	v_add_f64 v[82:83], v[60:61], v[82:83]
	v_add_f64 v[84:85], v[84:85], v[88:89]
	v_fma_f64 v[24:25], v[64:65], s[12:13], v[24:25]
	v_add_f64 v[8:9], v[8:9], v[86:87]
	v_add_f64 v[86:87], v[48:49], -v[52:53]
	v_fma_f64 v[88:89], v[64:65], s[6:7], v[94:95]
	v_fma_f64 v[60:61], v[14:15], s[6:7], v[92:93]
	;; [unrolled: 1-line block ×4, first 2 shown]
	v_add_f64 v[96:97], v[50:51], -v[46:47]
	v_fma_f64 v[104:105], v[12:13], s[12:13], v[68:69]
	v_add_f64 v[22:23], v[22:23], v[46:47]
	v_fma_f64 v[44:45], v[62:63], s[10:11], v[44:45]
	v_fma_f64 v[70:71], v[70:71], s[10:11], v[66:67]
	;; [unrolled: 1-line block ×5, first 2 shown]
	v_add_f64 v[100:101], v[46:47], -v[50:51]
	v_fma_f64 v[14:15], v[14:15], s[10:11], v[24:25]
	v_add_f64 v[8:9], v[8:9], v[26:27]
	v_fma_f64 v[66:67], v[84:85], s[16:17], v[88:89]
	v_fma_f64 v[64:65], v[82:83], s[16:17], v[60:61]
	;; [unrolled: 1-line block ×5, first 2 shown]
	v_add_f64 v[24:25], v[96:97], v[98:99]
	v_add_f64 v[22:23], v[22:23], v[48:49]
	v_fma_f64 v[26:27], v[72:73], s[10:11], v[104:105]
	v_fma_f64 v[70:71], v[10:11], s[16:17], v[70:71]
	;; [unrolled: 1-line block ×5, first 2 shown]
	v_add_f64 v[86:87], v[100:101], v[86:87]
	v_fma_f64 v[68:69], v[84:85], s[16:17], v[42:43]
	v_add_f64 v[8:9], v[8:9], v[102:103]
	v_mul_f64 v[42:43], v[66:67], s[12:13]
	v_mul_f64 v[10:11], v[64:65], s[10:11]
	;; [unrolled: 1-line block ×3, first 2 shown]
	v_fma_f64 v[84:85], v[72:73], s[6:7], v[88:89]
	v_fma_f64 v[72:73], v[82:83], s[16:17], v[14:15]
	v_mul_f64 v[14:15], v[60:61], s[18:19]
	v_add_f64 v[22:23], v[22:23], v[52:53]
	v_fma_f64 v[26:27], v[24:25], s[16:17], v[26:27]
	v_fma_f64 v[82:83], v[86:87], s[16:17], v[92:93]
	;; [unrolled: 1-line block ×5, first 2 shown]
	v_fma_f64 v[44:45], v[68:69], s[12:13], -v[44:45]
	v_fma_f64 v[24:25], v[24:25], s[16:17], v[84:85]
	v_fma_f64 v[14:15], v[72:73], s[10:11], -v[14:15]
	v_add_f64 v[84:85], v[22:23], v[8:9]
	v_add_f64 v[22:23], v[22:23], -v[8:9]
	v_add_f64 v[88:89], v[82:83], v[42:43]
	v_add_f64 v[86:87], v[26:27], v[10:11]
	v_add_f64 v[90:91], v[12:13], v[44:45]
	v_add_f64 v[8:9], v[26:27], -v[10:11]
	v_add_f64 v[10:11], v[82:83], -v[42:43]
	v_add_f64 v[26:27], v[24:25], v[14:15]
	v_add_f64 v[12:13], v[12:13], -v[44:45]
	v_add_f64 v[14:15], v[24:25], -v[14:15]
	v_mov_b32_e32 v24, 3
	v_add_nc_u32_e32 v83, 0x400, v78
	v_lshlrev_b32_sdwa v21, v24, v21 dst_sel:DWORD dst_unused:UNUSED_PAD src0_sel:DWORD src1_sel:BYTE_0
	v_add3_u32 v82, v20, v21, v80
	ds_write2_b64 v82, v[84:85], v[86:87] offset1:6
	ds_write2_b64 v82, v[88:89], v[90:91] offset0:12 offset1:18
	ds_write2_b64 v82, v[26:27], v[22:23] offset0:24 offset1:30
	;; [unrolled: 1-line block ×4, first 2 shown]
	s_waitcnt lgkmcnt(0)
	s_barrier
	buffer_gl0_inv
	ds_read2_b64 v[24:27], v83 offset0:52 offset1:232
	ds_read2_b64 v[20:23], v81 offset0:28 offset1:208
	ds_read_b64 v[42:43], v79
	ds_read_b64 v[44:45], v78 offset:7200
	s_and_saveexec_b32 s1, s0
	s_cbranch_execz .LBB0_21
; %bb.20:
	v_add_nc_u32_e32 v0, 0x200, v78
	v_add_nc_u32_e32 v1, 0xe00, v78
	;; [unrolled: 1-line block ×3, first 2 shown]
	ds_read2_b64 v[8:11], v0 offset0:44 offset1:224
	ds_read2_b64 v[12:15], v1 offset0:20 offset1:200
	;; [unrolled: 1-line block ×3, first 2 shown]
.LBB0_21:
	s_or_b32 exec_lo, exec_lo, s1
	v_add_f64 v[84:85], v[54:55], v[28:29]
	v_add_f64 v[86:87], v[40:41], v[18:19]
	;; [unrolled: 1-line block ×3, first 2 shown]
	v_add_f64 v[50:51], v[50:51], -v[52:53]
	v_add_f64 v[36:37], v[38:39], v[36:37]
	v_add_f64 v[38:39], v[46:47], -v[48:49]
	v_add_f64 v[48:49], v[40:41], -v[54:55]
	;; [unrolled: 1-line block ×4, first 2 shown]
	v_mul_f64 v[74:75], v[74:75], s[6:7]
	v_mul_f64 v[70:71], v[70:71], s[4:5]
	;; [unrolled: 1-line block ×4, first 2 shown]
	s_waitcnt lgkmcnt(0)
	s_barrier
	buffer_gl0_inv
	v_fma_f64 v[46:47], v[84:85], -0.5, v[34:35]
	v_fma_f64 v[34:35], v[86:87], -0.5, v[34:35]
	v_add_f64 v[54:55], v[88:89], v[54:55]
	v_add_f64 v[32:33], v[36:37], v[32:33]
	v_add_f64 v[36:37], v[28:29], -v[18:19]
	v_add_f64 v[48:49], v[48:49], v[52:53]
	v_fma_f64 v[52:53], v[62:63], s[4:5], -v[68:69]
	v_fma_f64 v[84:85], v[50:51], s[4:5], v[46:47]
	v_fma_f64 v[86:87], v[38:39], s[12:13], v[34:35]
	;; [unrolled: 1-line block ×4, first 2 shown]
	v_add_f64 v[28:29], v[54:55], v[28:29]
	v_add_f64 v[16:17], v[32:33], v[16:17]
	;; [unrolled: 1-line block ×3, first 2 shown]
	v_fma_f64 v[36:37], v[38:39], s[6:7], v[84:85]
	v_fma_f64 v[40:41], v[50:51], s[6:7], v[86:87]
	;; [unrolled: 1-line block ×5, first 2 shown]
	v_add_f64 v[18:19], v[28:29], v[18:19]
	v_add_f64 v[16:17], v[16:17], v[30:31]
	v_fma_f64 v[50:51], v[66:67], s[16:17], v[70:71]
	v_fma_f64 v[30:31], v[60:61], s[6:7], -v[72:73]
	v_fma_f64 v[28:29], v[48:49], s[16:17], v[36:37]
	v_fma_f64 v[36:37], v[32:33], s[16:17], v[40:41]
	;; [unrolled: 1-line block ×4, first 2 shown]
	v_add_f64 v[38:39], v[18:19], v[16:17]
	v_add_f64 v[40:41], v[18:19], -v[16:17]
	v_add_f64 v[48:49], v[28:29], v[46:47]
	v_add_f64 v[54:55], v[36:37], v[50:51]
	;; [unrolled: 1-line block ×4, first 2 shown]
	v_add_f64 v[16:17], v[28:29], -v[46:47]
	v_add_f64 v[18:19], v[36:37], -v[50:51]
	;; [unrolled: 1-line block ×4, first 2 shown]
	v_add_nc_u32_e32 v36, 0x1000, v78
	ds_write2_b64 v82, v[38:39], v[48:49] offset1:6
	ds_write2_b64 v82, v[54:55], v[60:61] offset0:12 offset1:18
	ds_write2_b64 v82, v[62:63], v[40:41] offset0:24 offset1:30
	;; [unrolled: 1-line block ×4, first 2 shown]
	s_waitcnt lgkmcnt(0)
	s_barrier
	buffer_gl0_inv
	ds_read2_b64 v[32:35], v83 offset0:52 offset1:232
	ds_read2_b64 v[36:39], v36 offset0:28 offset1:208
	ds_read_b64 v[40:41], v79
	ds_read_b64 v[46:47], v78 offset:7200
	s_and_saveexec_b32 s1, s0
	s_cbranch_execz .LBB0_23
; %bb.22:
	v_add_nc_u32_e32 v4, 0x200, v78
	v_add_nc_u32_e32 v5, 0xe00, v78
	;; [unrolled: 1-line block ×3, first 2 shown]
	ds_read2_b64 v[16:19], v4 offset0:44 offset1:224
	ds_read2_b64 v[28:31], v5 offset0:20 offset1:200
	;; [unrolled: 1-line block ×3, first 2 shown]
.LBB0_23:
	s_or_b32 exec_lo, exec_lo, s1
	v_and_b32_e32 v48, 0xff, v77
	v_subrev_nc_u32_e32 v49, 60, v76
	v_cmp_gt_u32_e64 s1, 60, v76
	v_mov_b32_e32 v51, 5
	s_mov_b32 s4, 0xe8584caa
	v_mul_lo_u16 v48, 0x89, v48
	s_mov_b32 s5, 0x3febb67a
	v_cndmask_b32_e64 v106, v49, v76, s1
	v_mov_b32_e32 v49, 0
	s_mov_b32 s7, 0xbfebb67a
	v_lshrrev_b16 v107, 13, v48
	s_mov_b32 s6, s4
	v_mul_i32_i24_e32 v48, 5, v106
	v_mul_lo_u16 v50, v107, 60
	v_lshlrev_b64 v[48:49], 4, v[48:49]
	v_sub_nc_u16 v81, v77, v50
	v_add_co_u32 v86, s1, s8, v48
	v_add_co_ci_u32_e64 v87, s1, s9, v49, s1
	v_mul_u32_u24_sdwa v52, v81, v51 dst_sel:DWORD dst_unused:UNUSED_PAD src0_sel:BYTE_0 src1_sel:DWORD
	v_cmp_lt_u32_e64 s1, 59, v76
	global_load_dwordx4 v[48:51], v[86:87], off offset:928
	v_lshlrev_b32_e32 v94, 4, v52
	s_clause 0x8
	global_load_dwordx4 v[52:55], v[86:87], off offset:896
	global_load_dwordx4 v[60:63], v94, s[8:9] offset:896
	global_load_dwordx4 v[64:67], v94, s[8:9] offset:928
	global_load_dwordx4 v[68:71], v[86:87], off offset:864
	global_load_dwordx4 v[72:75], v94, s[8:9] offset:864
	global_load_dwordx4 v[82:85], v[86:87], off offset:880
	global_load_dwordx4 v[86:89], v[86:87], off offset:912
	global_load_dwordx4 v[90:93], v94, s[8:9] offset:880
	global_load_dwordx4 v[94:97], v94, s[8:9] offset:912
	s_waitcnt vmcnt(0) lgkmcnt(0)
	s_barrier
	buffer_gl0_inv
	v_mul_f64 v[100:101], v[20:21], v[54:55]
	v_mul_f64 v[54:55], v[36:37], v[54:55]
	;; [unrolled: 1-line block ×8, first 2 shown]
	v_fma_f64 v[44:45], v[44:45], v[48:49], -v[98:99]
	v_mul_f64 v[98:99], v[32:33], v[70:71]
	v_fma_f64 v[46:47], v[46:47], v[48:49], v[50:51]
	v_mul_f64 v[50:51], v[24:25], v[70:71]
	v_mul_f64 v[70:71], v[18:19], v[74:75]
	;; [unrolled: 1-line block ×3, first 2 shown]
	v_fma_f64 v[48:49], v[36:37], v[52:53], v[100:101]
	v_fma_f64 v[36:37], v[20:21], v[52:53], -v[54:55]
	v_fma_f64 v[14:15], v[14:15], v[60:61], -v[102:103]
	v_fma_f64 v[30:31], v[30:31], v[60:61], v[62:63]
	v_fma_f64 v[20:21], v[6:7], v[64:65], v[104:105]
	v_fma_f64 v[2:3], v[2:3], v[64:65], -v[66:67]
	v_mul_f64 v[6:7], v[34:35], v[84:85]
	v_mul_f64 v[52:53], v[38:39], v[88:89]
	;; [unrolled: 1-line block ×4, first 2 shown]
	v_fma_f64 v[98:99], v[24:25], v[68:69], -v[98:99]
	v_fma_f64 v[24:25], v[32:33], v[68:69], v[50:51]
	v_fma_f64 v[10:11], v[10:11], v[72:73], -v[70:71]
	v_fma_f64 v[18:19], v[18:19], v[72:73], v[74:75]
	v_add_f64 v[32:33], v[48:49], v[46:47]
	v_add_f64 v[62:63], v[36:37], v[44:45]
	v_mul_f64 v[68:69], v[26:27], v[84:85]
	v_mul_f64 v[70:71], v[22:23], v[88:89]
	v_add_f64 v[64:65], v[30:31], v[20:21]
	v_add_f64 v[66:67], v[14:15], v[2:3]
	v_fma_f64 v[50:51], v[26:27], v[82:83], -v[6:7]
	v_mul_f64 v[6:7], v[12:13], v[92:93]
	v_mul_f64 v[72:73], v[0:1], v[96:97]
	v_fma_f64 v[52:53], v[22:23], v[86:87], -v[52:53]
	v_fma_f64 v[22:23], v[12:13], v[90:91], -v[54:55]
	;; [unrolled: 1-line block ×3, first 2 shown]
	v_add_f64 v[12:13], v[36:37], -v[44:45]
	v_add_f64 v[84:85], v[30:31], -v[20:21]
	;; [unrolled: 1-line block ×4, first 2 shown]
	v_fma_f64 v[32:33], v[32:33], -0.5, v[24:25]
	v_fma_f64 v[74:75], v[62:63], -0.5, v[98:99]
	v_fma_f64 v[68:69], v[34:35], v[82:83], v[68:69]
	v_fma_f64 v[38:39], v[38:39], v[86:87], v[70:71]
	v_fma_f64 v[92:93], v[64:65], -0.5, v[18:19]
	v_fma_f64 v[96:97], v[66:67], -0.5, v[10:11]
	v_add_f64 v[34:35], v[98:99], v[36:37]
	v_fma_f64 v[66:67], v[28:29], v[90:91], v[6:7]
	v_fma_f64 v[28:29], v[4:5], v[94:95], v[72:73]
	v_add_f64 v[4:5], v[50:51], v[52:53]
	v_add_f64 v[36:37], v[42:43], v[50:51]
	;; [unrolled: 1-line block ×5, first 2 shown]
	v_fma_f64 v[60:61], v[12:13], s[6:7], v[32:33]
	v_fma_f64 v[64:65], v[0:1], s[6:7], v[74:75]
	;; [unrolled: 1-line block ×3, first 2 shown]
	v_add_f64 v[82:83], v[68:69], -v[38:39]
	v_fma_f64 v[54:55], v[88:89], s[6:7], v[92:93]
	v_fma_f64 v[62:63], v[84:85], s[6:7], v[96:97]
	;; [unrolled: 1-line block ×4, first 2 shown]
	v_add_f64 v[14:15], v[66:67], -v[28:29]
	v_fma_f64 v[4:5], v[4:5], -0.5, v[42:43]
	v_fma_f64 v[42:43], v[84:85], s[4:5], v[96:97]
	v_fma_f64 v[8:9], v[6:7], -0.5, v[8:9]
	v_add_f64 v[36:37], v[36:37], v[52:53]
	v_add_f64 v[34:35], v[34:35], v[44:45]
	;; [unrolled: 1-line block ×4, first 2 shown]
	v_mul_f64 v[6:7], v[60:61], s[4:5]
	v_mul_f64 v[12:13], v[64:65], -0.5
	v_mul_f64 v[32:33], v[54:55], s[4:5]
	v_mul_f64 v[84:85], v[62:63], -0.5
	v_fma_f64 v[44:45], v[82:83], s[4:5], v[4:5]
	v_fma_f64 v[82:83], v[82:83], s[6:7], v[4:5]
	;; [unrolled: 1-line block ×3, first 2 shown]
	v_fma_f64 v[86:87], v[72:73], 0.5, v[6:7]
	v_fma_f64 v[6:7], v[14:15], s[4:5], v[8:9]
	v_fma_f64 v[12:13], v[74:75], s[4:5], v[12:13]
	v_add_f64 v[14:15], v[36:37], v[34:35]
	v_fma_f64 v[10:11], v[42:43], 0.5, v[32:33]
	v_fma_f64 v[8:9], v[70:71], s[4:5], v[84:85]
	v_add_f64 v[84:85], v[36:37], -v[34:35]
	v_add_f64 v[32:33], v[0:1], -v[2:3]
	v_add_f64 v[88:89], v[44:45], v[86:87]
	v_add_f64 v[44:45], v[44:45], -v[86:87]
	v_add_f64 v[90:91], v[82:83], v[12:13]
	v_add_f64 v[12:13], v[82:83], -v[12:13]
	v_add_f64 v[34:35], v[6:7], -v[10:11]
	v_add_f64 v[36:37], v[4:5], -v[8:9]
	v_cndmask_b32_e64 v82, 0, 0xb40, s1
	v_lshlrev_b32_e32 v83, 3, v106
	v_add_nc_u32_e32 v82, 0, v82
	v_add3_u32 v83, v82, v83, v80
	v_and_b32_e32 v82, 0xffff, v107
	v_add_nc_u32_e32 v86, 0x400, v83
	ds_write2_b64 v83, v[14:15], v[88:89] offset1:60
	ds_write2_b64 v83, v[90:91], v[84:85] offset0:120 offset1:180
	ds_write2_b64 v86, v[44:45], v[12:13] offset0:112 offset1:172
	s_and_saveexec_b32 s1, s0
	s_cbranch_execz .LBB0_25
; %bb.24:
	v_add_f64 v[6:7], v[6:7], v[10:11]
	v_add_f64 v[0:1], v[0:1], v[2:3]
	;; [unrolled: 1-line block ×3, first 2 shown]
	v_mov_b32_e32 v4, 3
	v_mad_u32_u24 v5, 0xb40, v82, 0
	v_lshlrev_b32_sdwa v4, v4, v81 dst_sel:DWORD dst_unused:UNUSED_PAD src0_sel:DWORD src1_sel:BYTE_0
	v_add3_u32 v4, v5, v4, v80
	v_add_nc_u32_e32 v5, 0x400, v4
	ds_write2_b64 v4, v[0:1], v[6:7] offset1:60
	ds_write2_b64 v4, v[2:3], v[32:33] offset0:120 offset1:180
	ds_write2_b64 v5, v[34:35], v[36:37] offset0:112 offset1:172
.LBB0_25:
	s_or_b32 exec_lo, exec_lo, s1
	v_add_nc_u32_e32 v0, 0x800, v78
	v_add_nc_u32_e32 v1, 0x1000, v78
	;; [unrolled: 1-line block ×3, first 2 shown]
	s_waitcnt lgkmcnt(0)
	s_barrier
	buffer_gl0_inv
	ds_read_b64 v[44:45], v79
	ds_read2_b64 v[12:15], v0 offset0:104 offset1:212
	ds_read2_b64 v[4:7], v1 offset0:64 offset1:208
	;; [unrolled: 1-line block ×4, first 2 shown]
	v_cmp_gt_u32_e64 s1, 36, v76
	s_and_saveexec_b32 s4, s1
	s_cbranch_execz .LBB0_27
; %bb.26:
	ds_read_b64 v[32:33], v78 offset:2592
	ds_read_b64 v[34:35], v78 offset:5472
	;; [unrolled: 1-line block ×3, first 2 shown]
.LBB0_27:
	s_or_b32 exec_lo, exec_lo, s4
	v_add_f64 v[84:85], v[68:69], v[38:39]
	v_add_f64 v[86:87], v[66:67], v[28:29]
	s_mov_b32 s4, 0xe8584caa
	s_mov_b32 s5, 0xbfebb67a
	v_add_f64 v[68:69], v[40:41], v[68:69]
	v_add_f64 v[50:51], v[50:51], -v[52:53]
	v_add_f64 v[24:25], v[24:25], v[48:49]
	v_mul_f64 v[48:49], v[74:75], -0.5
	v_add_f64 v[52:53], v[16:17], v[66:67]
	v_add_f64 v[18:19], v[18:19], v[30:31]
	v_mul_f64 v[30:31], v[72:73], s[4:5]
	v_add_f64 v[26:27], v[22:23], -v[26:27]
	v_mul_f64 v[22:23], v[70:71], -0.5
	v_mul_f64 v[42:43], v[42:43], s[4:5]
	s_mov_b32 s7, 0x3febb67a
	s_mov_b32 s6, s4
	s_waitcnt lgkmcnt(0)
	s_barrier
	buffer_gl0_inv
	v_fma_f64 v[40:41], v[84:85], -0.5, v[40:41]
	v_fma_f64 v[66:67], v[86:87], -0.5, v[16:17]
	v_add_f64 v[38:39], v[68:69], v[38:39]
	v_add_f64 v[46:47], v[24:25], v[46:47]
	v_fma_f64 v[48:49], v[64:65], s[4:5], v[48:49]
	v_add_f64 v[16:17], v[52:53], v[28:29]
	v_add_f64 v[18:19], v[18:19], v[20:21]
	v_fma_f64 v[28:29], v[60:61], 0.5, v[30:31]
	v_fma_f64 v[20:21], v[62:63], s[4:5], v[22:23]
	v_fma_f64 v[22:23], v[54:55], 0.5, v[42:43]
	v_fma_f64 v[30:31], v[50:51], s[4:5], v[40:41]
	v_fma_f64 v[40:41], v[50:51], s[6:7], v[40:41]
	;; [unrolled: 1-line block ×4, first 2 shown]
	v_add_f64 v[50:51], v[38:39], v[46:47]
	v_add_f64 v[46:47], v[38:39], -v[46:47]
	v_add_f64 v[38:39], v[16:17], -v[18:19]
	v_add_f64 v[52:53], v[30:31], v[28:29]
	v_add_f64 v[54:55], v[40:41], v[48:49]
	v_add_f64 v[28:29], v[30:31], -v[28:29]
	v_add_f64 v[30:31], v[40:41], -v[48:49]
	;; [unrolled: 1-line block ×4, first 2 shown]
	v_add_nc_u32_e32 v48, 0x400, v83
	ds_write2_b64 v83, v[50:51], v[52:53] offset1:60
	ds_write2_b64 v83, v[54:55], v[46:47] offset0:120 offset1:180
	ds_write2_b64 v48, v[28:29], v[30:31] offset0:112 offset1:172
	s_and_saveexec_b32 s4, s0
	s_cbranch_execz .LBB0_29
; %bb.28:
	v_add_f64 v[16:17], v[16:17], v[18:19]
	v_add_f64 v[18:19], v[24:25], v[22:23]
	;; [unrolled: 1-line block ×3, first 2 shown]
	v_mov_b32_e32 v22, 3
	v_mad_u32_u24 v23, 0xb40, v82, 0
	v_lshlrev_b32_sdwa v22, v22, v81 dst_sel:DWORD dst_unused:UNUSED_PAD src0_sel:DWORD src1_sel:BYTE_0
	v_add3_u32 v22, v23, v22, v80
	v_add_nc_u32_e32 v23, 0x400, v22
	ds_write2_b64 v22, v[16:17], v[18:19] offset1:60
	ds_write2_b64 v22, v[20:21], v[38:39] offset0:120 offset1:180
	ds_write2_b64 v23, v[40:41], v[42:43] offset0:112 offset1:172
.LBB0_29:
	s_or_b32 exec_lo, exec_lo, s4
	v_add_nc_u32_e32 v16, 0x800, v78
	v_add_nc_u32_e32 v17, 0x1000, v78
	;; [unrolled: 1-line block ×3, first 2 shown]
	s_waitcnt lgkmcnt(0)
	s_barrier
	buffer_gl0_inv
	ds_read_b64 v[48:49], v79
	ds_read2_b64 v[20:23], v16 offset0:104 offset1:212
	ds_read2_b64 v[28:31], v17 offset0:64 offset1:208
	;; [unrolled: 1-line block ×4, first 2 shown]
	s_and_saveexec_b32 s0, s1
	s_cbranch_execz .LBB0_31
; %bb.30:
	ds_read_b64 v[38:39], v78 offset:2592
	ds_read_b64 v[40:41], v78 offset:5472
	;; [unrolled: 1-line block ×3, first 2 shown]
.LBB0_31:
	s_or_b32 exec_lo, exec_lo, s0
	s_and_saveexec_b32 s0, vcc_lo
	s_cbranch_execz .LBB0_34
; %bb.32:
	v_mov_b32_e32 v47, 0
	v_lshlrev_b32_e32 v50, 1, v76
	v_add_nc_u32_e32 v95, 0xd8, v76
	s_mov_b32 s5, 0xbfebb67a
	v_mov_b32_e32 v51, v47
	v_add_nc_u32_e32 v46, 0x1b0, v50
	v_lshlrev_b64 v[50:51], 4, v[50:51]
	v_lshlrev_b64 v[52:53], 4, v[46:47]
	v_lshlrev_b32_e32 v46, 1, v77
	v_lshlrev_b64 v[54:55], 4, v[46:47]
	v_add_co_u32 v46, vcc_lo, s8, v50
	v_add_co_ci_u32_e32 v60, vcc_lo, s9, v51, vcc_lo
	v_add_co_u32 v72, vcc_lo, s8, v52
	v_add_co_ci_u32_e32 v73, vcc_lo, s9, v53, vcc_lo
	v_add_co_u32 v50, vcc_lo, 0x1620, v46
	v_add_co_ci_u32_e32 v51, vcc_lo, 0, v60, vcc_lo
	v_add_co_u32 v52, vcc_lo, 0x1000, v72
	v_add_co_ci_u32_e32 v53, vcc_lo, 0, v73, vcc_lo
	v_add_co_u32 v68, vcc_lo, 0x1000, v46
	v_add_co_ci_u32_e32 v69, vcc_lo, 0, v60, vcc_lo
	v_add_co_u32 v46, vcc_lo, s8, v54
	v_add_co_ci_u32_e32 v55, vcc_lo, s9, v55, vcc_lo
	s_clause 0x2
	global_load_dwordx4 v[60:63], v[52:53], off offset:1568
	global_load_dwordx4 v[64:67], v[50:51], off offset:16
	;; [unrolled: 1-line block ×3, first 2 shown]
	v_add_co_u32 v50, vcc_lo, 0x1000, v46
	v_add_co_ci_u32_e32 v51, vcc_lo, 0, v55, vcc_lo
	v_add_co_u32 v52, vcc_lo, 0x1620, v72
	v_add_co_ci_u32_e32 v53, vcc_lo, 0, v73, vcc_lo
	;; [unrolled: 2-line block ×3, first 2 shown]
	s_clause 0x2
	global_load_dwordx4 v[72:75], v[52:53], off offset:16
	global_load_dwordx4 v[77:80], v[50:51], off offset:1568
	global_load_dwordx4 v[81:84], v[54:55], off offset:16
	v_lshrrev_b32_e32 v50, 3, v76
	v_mul_lo_u32 v55, s2, v59
	v_add_nc_u32_e32 v59, 0x6c, v76
	v_mul_lo_u32 v46, s3, v58
	v_mad_u64_u32 v[51:52], null, s2, v58, 0
	v_lshlrev_b64 v[53:54], 4, v[56:57]
	v_mul_hi_u32 v56, 0x16c16c17, v50
	v_lshrrev_b32_e32 v57, 3, v59
	v_lshrrev_b32_e32 v58, 3, v95
	s_mov_b32 s2, 0xe8584caa
	s_mov_b32 s3, 0x3febb67a
	v_add3_u32 v52, v52, v55, v46
	v_mul_hi_u32 v46, 0x16c16c17, v57
	v_mul_hi_u32 v57, 0x16c16c17, v58
	v_lshrrev_b32_e32 v58, 2, v56
	v_mov_b32_e32 v55, v47
	v_lshlrev_b64 v[51:52], 4, v[51:52]
	s_mov_b32 s4, s2
	v_mov_b32_e32 v56, v47
	v_mul_u32_u24_e32 v58, 0x168, v58
	v_lshrrev_b32_e32 v46, 2, v46
	v_lshrrev_b32_e32 v96, 2, v57
	v_add_co_u32 v51, s0, s14, v51
	v_sub_nc_u32_e32 v98, v76, v58
	v_add_co_ci_u32_e64 v97, s0, s15, v52, s0
	v_mul_u32_u24_e32 v99, 0x168, v46
	v_add_co_u32 v52, s0, v51, v53
	v_add_co_ci_u32_e64 v53, s0, v97, v54, s0
	v_sub_nc_u32_e32 v51, v59, v99
	v_lshlrev_b32_e32 v54, 4, v98
	v_mul_u32_u24_e32 v100, 0x168, v96
	v_add_nc_u32_e32 v50, 0x144, v76
	v_mad_u32_u24 v46, 0x438, v46, v51
	v_sub_nc_u32_e32 v95, v95, v100
	v_cmp_gt_u32_e32 vcc_lo, 0x168, v50
	s_waitcnt vmcnt(5)
	v_mul_f64 v[85:86], v[4:5], v[62:63]
	s_waitcnt vmcnt(4) lgkmcnt(2)
	v_mul_f64 v[57:58], v[30:31], v[66:67]
	v_mul_f64 v[66:67], v[6:7], v[66:67]
	s_waitcnt vmcnt(3)
	v_mul_f64 v[87:88], v[20:21], v[70:71]
	v_mul_f64 v[70:71], v[12:13], v[70:71]
	;; [unrolled: 1-line block ×3, first 2 shown]
	s_waitcnt vmcnt(2)
	v_mul_f64 v[89:90], v[10:11], v[74:75]
	s_waitcnt vmcnt(1)
	v_mul_f64 v[91:92], v[22:23], v[79:80]
	v_mul_f64 v[79:80], v[14:15], v[79:80]
	s_waitcnt vmcnt(0)
	v_mul_f64 v[93:94], v[8:9], v[83:84]
	s_waitcnt lgkmcnt(0)
	v_mul_f64 v[83:84], v[24:25], v[83:84]
	v_mul_f64 v[74:75], v[26:27], v[74:75]
	v_fma_f64 v[28:29], v[28:29], v[60:61], v[85:86]
	v_fma_f64 v[57:58], v[6:7], v[64:65], -v[57:58]
	v_fma_f64 v[6:7], v[30:31], v[64:65], v[66:67]
	v_fma_f64 v[12:13], v[12:13], v[68:69], -v[87:88]
	;; [unrolled: 2-line block ×3, first 2 shown]
	v_add_co_u32 v64, s0, v52, v54
	v_add_co_ci_u32_e64 v65, s0, 0, v53, s0
	v_lshlrev_b64 v[30:31], 4, v[46:47]
	v_add_co_u32 v59, s0, 0x1000, v64
	v_add_co_ci_u32_e64 v60, s0, 0, v65, s0
	v_fma_f64 v[14:15], v[14:15], v[77:78], -v[91:92]
	v_fma_f64 v[22:23], v[22:23], v[77:78], v[79:80]
	v_fma_f64 v[24:25], v[24:25], v[81:82], v[93:94]
	v_fma_f64 v[8:9], v[8:9], v[81:82], -v[83:84]
	v_fma_f64 v[26:27], v[26:27], v[72:73], v[89:90]
	v_fma_f64 v[10:11], v[10:11], v[72:73], -v[74:75]
	v_add_co_u32 v61, s0, 0x2800, v64
	v_add_co_ci_u32_e64 v62, s0, 0, v65, s0
	v_add_f64 v[74:75], v[12:13], v[57:58]
	v_add_f64 v[72:73], v[20:21], v[6:7]
	v_add_co_u32 v81, s0, v52, v30
	v_add_co_ci_u32_e64 v82, s0, v53, v31, s0
	v_add_nc_u32_e32 v54, 0x168, v46
	v_add_nc_u32_e32 v46, 0x2d0, v46
	v_add_f64 v[89:90], v[12:13], -v[57:58]
	v_add_f64 v[91:92], v[48:49], v[20:21]
	v_add_f64 v[12:13], v[44:45], v[12:13]
	v_add_f64 v[20:21], v[20:21], -v[6:7]
	v_lshlrev_b64 v[68:69], 4, v[46:47]
	v_add_f64 v[93:94], v[16:17], v[22:23]
	v_add_f64 v[77:78], v[22:23], v[24:25]
	;; [unrolled: 1-line block ×5, first 2 shown]
	v_add_f64 v[85:86], v[4:5], -v[10:11]
	v_add_f64 v[4:5], v[2:3], v[4:5]
	v_add_f64 v[99:100], v[22:23], -v[24:25]
	v_mad_u32_u24 v46, 0x438, v96, v95
	v_fma_f64 v[44:45], v[74:75], -0.5, v[44:45]
	v_fma_f64 v[22:23], v[72:73], -0.5, v[48:49]
	v_add_f64 v[95:96], v[0:1], v[14:15]
	v_add_f64 v[97:98], v[14:15], -v[8:9]
	v_add_f64 v[87:88], v[18:19], v[28:29]
	v_add_f64 v[74:75], v[28:29], -v[26:27]
	v_lshlrev_b64 v[66:67], 4, v[54:55]
	v_add_nc_u32_e32 v55, 0x168, v46
	v_lshlrev_b64 v[83:84], 4, v[46:47]
	v_add_f64 v[6:7], v[91:92], v[6:7]
	v_add_nc_u32_e32 v46, 0x2d0, v46
	v_add_co_u32 v66, s0, v52, v66
	v_fma_f64 v[48:49], v[77:78], -0.5, v[16:17]
	v_fma_f64 v[72:73], v[79:80], -0.5, v[0:1]
	;; [unrolled: 1-line block ×4, first 2 shown]
	v_lshlrev_b64 v[79:80], 4, v[55:56]
	v_add_f64 v[0:1], v[4:5], v[10:11]
	v_add_f64 v[4:5], v[12:13], v[57:58]
	;; [unrolled: 1-line block ×3, first 2 shown]
	v_fma_f64 v[16:17], v[20:21], s[4:5], v[44:45]
	v_fma_f64 v[18:19], v[89:90], s[2:3], v[22:23]
	;; [unrolled: 1-line block ×4, first 2 shown]
	v_add_f64 v[8:9], v[95:96], v[8:9]
	v_add_f64 v[2:3], v[87:88], v[26:27]
	v_add_co_ci_u32_e64 v67, s0, v53, v67, s0
	v_add_co_u32 v68, s0, v52, v68
	v_add_co_ci_u32_e64 v69, s0, v53, v69, s0
	v_lshlrev_b64 v[44:45], 4, v[46:47]
	v_fma_f64 v[30:31], v[97:98], s[4:5], v[48:49]
	v_fma_f64 v[28:29], v[99:100], s[2:3], v[72:73]
	;; [unrolled: 1-line block ×8, first 2 shown]
	v_add_co_u32 v48, s0, v52, v83
	v_add_co_ci_u32_e64 v49, s0, v53, v84, s0
	v_add_co_u32 v70, s0, v52, v79
	v_add_co_ci_u32_e64 v71, s0, v53, v80, s0
	;; [unrolled: 2-line block ×3, first 2 shown]
	global_store_dwordx4 v[64:65], v[4:7], off
	global_store_dwordx4 v[59:60], v[20:23], off offset:1664
	global_store_dwordx4 v[61:62], v[16:19], off offset:1280
	global_store_dwordx4 v[81:82], v[8:11], off
	global_store_dwordx4 v[66:67], v[28:31], off
	;; [unrolled: 1-line block ×6, first 2 shown]
	s_and_b32 exec_lo, exec_lo, vcc_lo
	s_cbranch_execz .LBB0_34
; %bb.33:
	v_mov_b32_e32 v0, 0x144
	v_mov_b32_e32 v51, v47
	v_cndmask_b32_e64 v0, 0xffffffdc, v0, s1
	v_add_lshl_u32 v46, v76, v0, 1
	v_lshlrev_b64 v[0:1], 4, v[46:47]
	v_add_nc_u32_e32 v46, 0x2ac, v76
	v_add_co_u32 v2, vcc_lo, s8, v0
	v_add_co_ci_u32_e32 v3, vcc_lo, s9, v1, vcc_lo
	v_add_co_u32 v0, vcc_lo, 0x1000, v2
	v_add_co_ci_u32_e32 v1, vcc_lo, 0, v3, vcc_lo
	;; [unrolled: 2-line block ×3, first 2 shown]
	s_clause 0x1
	global_load_dwordx4 v[0:3], v[0:1], off offset:1568
	global_load_dwordx4 v[4:7], v[4:5], off offset:16
	s_waitcnt vmcnt(1)
	v_mul_f64 v[8:9], v[40:41], v[2:3]
	s_waitcnt vmcnt(0)
	v_mul_f64 v[10:11], v[42:43], v[6:7]
	v_mul_f64 v[2:3], v[34:35], v[2:3]
	;; [unrolled: 1-line block ×3, first 2 shown]
	v_fma_f64 v[8:9], v[34:35], v[0:1], -v[8:9]
	v_fma_f64 v[10:11], v[36:37], v[4:5], -v[10:11]
	v_fma_f64 v[0:1], v[40:41], v[0:1], v[2:3]
	v_fma_f64 v[2:3], v[42:43], v[4:5], v[6:7]
	v_add_f64 v[12:13], v[32:33], v[8:9]
	v_add_f64 v[4:5], v[8:9], v[10:11]
	;; [unrolled: 1-line block ×4, first 2 shown]
	v_add_f64 v[14:15], v[0:1], -v[2:3]
	v_add_f64 v[20:21], v[8:9], -v[10:11]
	v_add_f64 v[0:1], v[12:13], v[10:11]
	v_fma_f64 v[18:19], v[4:5], -0.5, v[32:33]
	v_add_f64 v[2:3], v[16:17], v[2:3]
	v_fma_f64 v[22:23], v[6:7], -0.5, v[38:39]
	v_lshlrev_b64 v[12:13], 4, v[50:51]
	v_add_co_u32 v12, vcc_lo, v52, v12
	v_add_co_ci_u32_e32 v13, vcc_lo, v53, v13, vcc_lo
	v_fma_f64 v[4:5], v[14:15], s[2:3], v[18:19]
	v_fma_f64 v[8:9], v[14:15], s[4:5], v[18:19]
	;; [unrolled: 1-line block ×4, first 2 shown]
	v_lshlrev_b64 v[14:15], 4, v[46:47]
	v_add_nc_u32_e32 v46, 0x414, v76
	v_lshlrev_b64 v[16:17], 4, v[46:47]
	v_add_co_u32 v14, vcc_lo, v52, v14
	v_add_co_ci_u32_e32 v15, vcc_lo, v53, v15, vcc_lo
	v_add_co_u32 v16, vcc_lo, v52, v16
	v_add_co_ci_u32_e32 v17, vcc_lo, v53, v17, vcc_lo
	global_store_dwordx4 v[12:13], v[0:3], off
	global_store_dwordx4 v[14:15], v[4:7], off
	;; [unrolled: 1-line block ×3, first 2 shown]
.LBB0_34:
	s_endpgm
	.section	.rodata,"a",@progbits
	.p2align	6, 0x0
	.amdhsa_kernel fft_rtc_fwd_len1080_factors_6_10_6_3_wgs_216_tpt_108_halfLds_dp_op_CI_CI_unitstride_sbrr_dirReg
		.amdhsa_group_segment_fixed_size 0
		.amdhsa_private_segment_fixed_size 0
		.amdhsa_kernarg_size 104
		.amdhsa_user_sgpr_count 6
		.amdhsa_user_sgpr_private_segment_buffer 1
		.amdhsa_user_sgpr_dispatch_ptr 0
		.amdhsa_user_sgpr_queue_ptr 0
		.amdhsa_user_sgpr_kernarg_segment_ptr 1
		.amdhsa_user_sgpr_dispatch_id 0
		.amdhsa_user_sgpr_flat_scratch_init 0
		.amdhsa_user_sgpr_private_segment_size 0
		.amdhsa_wavefront_size32 1
		.amdhsa_uses_dynamic_stack 0
		.amdhsa_system_sgpr_private_segment_wavefront_offset 0
		.amdhsa_system_sgpr_workgroup_id_x 1
		.amdhsa_system_sgpr_workgroup_id_y 0
		.amdhsa_system_sgpr_workgroup_id_z 0
		.amdhsa_system_sgpr_workgroup_info 0
		.amdhsa_system_vgpr_workitem_id 0
		.amdhsa_next_free_vgpr 108
		.amdhsa_next_free_sgpr 27
		.amdhsa_reserve_vcc 1
		.amdhsa_reserve_flat_scratch 0
		.amdhsa_float_round_mode_32 0
		.amdhsa_float_round_mode_16_64 0
		.amdhsa_float_denorm_mode_32 3
		.amdhsa_float_denorm_mode_16_64 3
		.amdhsa_dx10_clamp 1
		.amdhsa_ieee_mode 1
		.amdhsa_fp16_overflow 0
		.amdhsa_workgroup_processor_mode 1
		.amdhsa_memory_ordered 1
		.amdhsa_forward_progress 0
		.amdhsa_shared_vgpr_count 0
		.amdhsa_exception_fp_ieee_invalid_op 0
		.amdhsa_exception_fp_denorm_src 0
		.amdhsa_exception_fp_ieee_div_zero 0
		.amdhsa_exception_fp_ieee_overflow 0
		.amdhsa_exception_fp_ieee_underflow 0
		.amdhsa_exception_fp_ieee_inexact 0
		.amdhsa_exception_int_div_zero 0
	.end_amdhsa_kernel
	.text
.Lfunc_end0:
	.size	fft_rtc_fwd_len1080_factors_6_10_6_3_wgs_216_tpt_108_halfLds_dp_op_CI_CI_unitstride_sbrr_dirReg, .Lfunc_end0-fft_rtc_fwd_len1080_factors_6_10_6_3_wgs_216_tpt_108_halfLds_dp_op_CI_CI_unitstride_sbrr_dirReg
                                        ; -- End function
	.section	.AMDGPU.csdata,"",@progbits
; Kernel info:
; codeLenInByte = 8528
; NumSgprs: 29
; NumVgprs: 108
; ScratchSize: 0
; MemoryBound: 1
; FloatMode: 240
; IeeeMode: 1
; LDSByteSize: 0 bytes/workgroup (compile time only)
; SGPRBlocks: 3
; VGPRBlocks: 13
; NumSGPRsForWavesPerEU: 29
; NumVGPRsForWavesPerEU: 108
; Occupancy: 9
; WaveLimiterHint : 1
; COMPUTE_PGM_RSRC2:SCRATCH_EN: 0
; COMPUTE_PGM_RSRC2:USER_SGPR: 6
; COMPUTE_PGM_RSRC2:TRAP_HANDLER: 0
; COMPUTE_PGM_RSRC2:TGID_X_EN: 1
; COMPUTE_PGM_RSRC2:TGID_Y_EN: 0
; COMPUTE_PGM_RSRC2:TGID_Z_EN: 0
; COMPUTE_PGM_RSRC2:TIDIG_COMP_CNT: 0
	.text
	.p2alignl 6, 3214868480
	.fill 48, 4, 3214868480
	.type	__hip_cuid_688411eb154d20d,@object ; @__hip_cuid_688411eb154d20d
	.section	.bss,"aw",@nobits
	.globl	__hip_cuid_688411eb154d20d
__hip_cuid_688411eb154d20d:
	.byte	0                               ; 0x0
	.size	__hip_cuid_688411eb154d20d, 1

	.ident	"AMD clang version 19.0.0git (https://github.com/RadeonOpenCompute/llvm-project roc-6.4.0 25133 c7fe45cf4b819c5991fe208aaa96edf142730f1d)"
	.section	".note.GNU-stack","",@progbits
	.addrsig
	.addrsig_sym __hip_cuid_688411eb154d20d
	.amdgpu_metadata
---
amdhsa.kernels:
  - .args:
      - .actual_access:  read_only
        .address_space:  global
        .offset:         0
        .size:           8
        .value_kind:     global_buffer
      - .offset:         8
        .size:           8
        .value_kind:     by_value
      - .actual_access:  read_only
        .address_space:  global
        .offset:         16
        .size:           8
        .value_kind:     global_buffer
      - .actual_access:  read_only
        .address_space:  global
        .offset:         24
        .size:           8
        .value_kind:     global_buffer
      - .actual_access:  read_only
        .address_space:  global
        .offset:         32
        .size:           8
        .value_kind:     global_buffer
      - .offset:         40
        .size:           8
        .value_kind:     by_value
      - .actual_access:  read_only
        .address_space:  global
        .offset:         48
        .size:           8
        .value_kind:     global_buffer
      - .actual_access:  read_only
        .address_space:  global
        .offset:         56
        .size:           8
        .value_kind:     global_buffer
      - .offset:         64
        .size:           4
        .value_kind:     by_value
      - .actual_access:  read_only
        .address_space:  global
        .offset:         72
        .size:           8
        .value_kind:     global_buffer
      - .actual_access:  read_only
        .address_space:  global
        .offset:         80
        .size:           8
        .value_kind:     global_buffer
      - .actual_access:  read_only
        .address_space:  global
        .offset:         88
        .size:           8
        .value_kind:     global_buffer
      - .actual_access:  write_only
        .address_space:  global
        .offset:         96
        .size:           8
        .value_kind:     global_buffer
    .group_segment_fixed_size: 0
    .kernarg_segment_align: 8
    .kernarg_segment_size: 104
    .language:       OpenCL C
    .language_version:
      - 2
      - 0
    .max_flat_workgroup_size: 216
    .name:           fft_rtc_fwd_len1080_factors_6_10_6_3_wgs_216_tpt_108_halfLds_dp_op_CI_CI_unitstride_sbrr_dirReg
    .private_segment_fixed_size: 0
    .sgpr_count:     29
    .sgpr_spill_count: 0
    .symbol:         fft_rtc_fwd_len1080_factors_6_10_6_3_wgs_216_tpt_108_halfLds_dp_op_CI_CI_unitstride_sbrr_dirReg.kd
    .uniform_work_group_size: 1
    .uses_dynamic_stack: false
    .vgpr_count:     108
    .vgpr_spill_count: 0
    .wavefront_size: 32
    .workgroup_processor_mode: 1
amdhsa.target:   amdgcn-amd-amdhsa--gfx1030
amdhsa.version:
  - 1
  - 2
...

	.end_amdgpu_metadata
